;; amdgpu-corpus repo=ROCm/rocFFT kind=compiled arch=gfx906 opt=O3
	.text
	.amdgcn_target "amdgcn-amd-amdhsa--gfx906"
	.amdhsa_code_object_version 6
	.protected	fft_rtc_fwd_len594_factors_11_3_6_3_wgs_99_tpt_99_dp_op_CI_CI_unitstride_sbrr_dirReg ; -- Begin function fft_rtc_fwd_len594_factors_11_3_6_3_wgs_99_tpt_99_dp_op_CI_CI_unitstride_sbrr_dirReg
	.globl	fft_rtc_fwd_len594_factors_11_3_6_3_wgs_99_tpt_99_dp_op_CI_CI_unitstride_sbrr_dirReg
	.p2align	8
	.type	fft_rtc_fwd_len594_factors_11_3_6_3_wgs_99_tpt_99_dp_op_CI_CI_unitstride_sbrr_dirReg,@function
fft_rtc_fwd_len594_factors_11_3_6_3_wgs_99_tpt_99_dp_op_CI_CI_unitstride_sbrr_dirReg: ; @fft_rtc_fwd_len594_factors_11_3_6_3_wgs_99_tpt_99_dp_op_CI_CI_unitstride_sbrr_dirReg
; %bb.0:
	s_load_dwordx4 s[8:11], s[4:5], 0x58
	s_load_dwordx4 s[12:15], s[4:5], 0x0
	;; [unrolled: 1-line block ×3, first 2 shown]
	v_mul_u32_u24_e32 v1, 0x296, v0
	v_add_u32_sdwa v6, s6, v1 dst_sel:DWORD dst_unused:UNUSED_PAD src0_sel:DWORD src1_sel:WORD_1
	v_mov_b32_e32 v1, 0
	s_waitcnt lgkmcnt(0)
	v_cmp_lt_u64_e64 s[0:1], s[14:15], 2
	v_mov_b32_e32 v4, 0
	v_mov_b32_e32 v7, v1
	s_and_b64 vcc, exec, s[0:1]
	v_mov_b32_e32 v5, 0
	s_cbranch_vccnz .LBB0_8
; %bb.1:
	s_load_dwordx2 s[0:1], s[4:5], 0x10
	s_add_u32 s2, s18, 8
	s_addc_u32 s3, s19, 0
	s_add_u32 s6, s16, 8
	v_mov_b32_e32 v4, 0
	s_addc_u32 s7, s17, 0
	v_mov_b32_e32 v5, 0
	s_waitcnt lgkmcnt(0)
	s_add_u32 s20, s0, 8
	v_mov_b32_e32 v45, v5
	s_addc_u32 s21, s1, 0
	s_mov_b64 s[22:23], 1
	v_mov_b32_e32 v44, v4
.LBB0_2:                                ; =>This Inner Loop Header: Depth=1
	s_load_dwordx2 s[24:25], s[20:21], 0x0
                                        ; implicit-def: $vgpr46_vgpr47
	s_waitcnt lgkmcnt(0)
	v_or_b32_e32 v2, s25, v7
	v_cmp_ne_u64_e32 vcc, 0, v[1:2]
	s_and_saveexec_b64 s[0:1], vcc
	s_xor_b64 s[26:27], exec, s[0:1]
	s_cbranch_execz .LBB0_4
; %bb.3:                                ;   in Loop: Header=BB0_2 Depth=1
	v_cvt_f32_u32_e32 v2, s24
	v_cvt_f32_u32_e32 v3, s25
	s_sub_u32 s0, 0, s24
	s_subb_u32 s1, 0, s25
	v_mac_f32_e32 v2, 0x4f800000, v3
	v_rcp_f32_e32 v2, v2
	v_mul_f32_e32 v2, 0x5f7ffffc, v2
	v_mul_f32_e32 v3, 0x2f800000, v2
	v_trunc_f32_e32 v3, v3
	v_mac_f32_e32 v2, 0xcf800000, v3
	v_cvt_u32_f32_e32 v3, v3
	v_cvt_u32_f32_e32 v2, v2
	v_mul_lo_u32 v8, s0, v3
	v_mul_hi_u32 v9, s0, v2
	v_mul_lo_u32 v11, s1, v2
	v_mul_lo_u32 v10, s0, v2
	v_add_u32_e32 v8, v9, v8
	v_add_u32_e32 v8, v8, v11
	v_mul_hi_u32 v9, v2, v10
	v_mul_lo_u32 v11, v2, v8
	v_mul_hi_u32 v13, v2, v8
	v_mul_hi_u32 v12, v3, v10
	v_mul_lo_u32 v10, v3, v10
	v_mul_hi_u32 v14, v3, v8
	v_add_co_u32_e32 v9, vcc, v9, v11
	v_addc_co_u32_e32 v11, vcc, 0, v13, vcc
	v_mul_lo_u32 v8, v3, v8
	v_add_co_u32_e32 v9, vcc, v9, v10
	v_addc_co_u32_e32 v9, vcc, v11, v12, vcc
	v_addc_co_u32_e32 v10, vcc, 0, v14, vcc
	v_add_co_u32_e32 v8, vcc, v9, v8
	v_addc_co_u32_e32 v9, vcc, 0, v10, vcc
	v_add_co_u32_e32 v2, vcc, v2, v8
	v_addc_co_u32_e32 v3, vcc, v3, v9, vcc
	v_mul_lo_u32 v8, s0, v3
	v_mul_hi_u32 v9, s0, v2
	v_mul_lo_u32 v10, s1, v2
	v_mul_lo_u32 v11, s0, v2
	v_add_u32_e32 v8, v9, v8
	v_add_u32_e32 v8, v8, v10
	v_mul_lo_u32 v12, v2, v8
	v_mul_hi_u32 v13, v2, v11
	v_mul_hi_u32 v14, v2, v8
	v_mul_hi_u32 v10, v3, v11
	v_mul_lo_u32 v11, v3, v11
	v_mul_hi_u32 v9, v3, v8
	v_add_co_u32_e32 v12, vcc, v13, v12
	v_addc_co_u32_e32 v13, vcc, 0, v14, vcc
	v_mul_lo_u32 v8, v3, v8
	v_add_co_u32_e32 v11, vcc, v12, v11
	v_addc_co_u32_e32 v10, vcc, v13, v10, vcc
	v_addc_co_u32_e32 v9, vcc, 0, v9, vcc
	v_add_co_u32_e32 v8, vcc, v10, v8
	v_addc_co_u32_e32 v9, vcc, 0, v9, vcc
	v_add_co_u32_e32 v8, vcc, v2, v8
	v_addc_co_u32_e32 v9, vcc, v3, v9, vcc
	v_mad_u64_u32 v[2:3], s[0:1], v6, v9, 0
	v_mul_hi_u32 v10, v6, v8
	v_add_co_u32_e32 v10, vcc, v10, v2
	v_addc_co_u32_e32 v11, vcc, 0, v3, vcc
	v_mad_u64_u32 v[2:3], s[0:1], v7, v8, 0
	v_mad_u64_u32 v[8:9], s[0:1], v7, v9, 0
	v_add_co_u32_e32 v2, vcc, v10, v2
	v_addc_co_u32_e32 v2, vcc, v11, v3, vcc
	v_addc_co_u32_e32 v3, vcc, 0, v9, vcc
	v_add_co_u32_e32 v8, vcc, v2, v8
	v_addc_co_u32_e32 v9, vcc, 0, v3, vcc
	v_mul_lo_u32 v10, s25, v8
	v_mul_lo_u32 v11, s24, v9
	v_mad_u64_u32 v[2:3], s[0:1], s24, v8, 0
	v_add3_u32 v3, v3, v11, v10
	v_sub_u32_e32 v10, v7, v3
	v_mov_b32_e32 v11, s25
	v_sub_co_u32_e32 v2, vcc, v6, v2
	v_subb_co_u32_e64 v10, s[0:1], v10, v11, vcc
	v_subrev_co_u32_e64 v11, s[0:1], s24, v2
	v_subbrev_co_u32_e64 v10, s[0:1], 0, v10, s[0:1]
	v_cmp_le_u32_e64 s[0:1], s25, v10
	v_cndmask_b32_e64 v12, 0, -1, s[0:1]
	v_cmp_le_u32_e64 s[0:1], s24, v11
	v_cndmask_b32_e64 v11, 0, -1, s[0:1]
	v_cmp_eq_u32_e64 s[0:1], s25, v10
	v_cndmask_b32_e64 v10, v12, v11, s[0:1]
	v_add_co_u32_e64 v11, s[0:1], 2, v8
	v_addc_co_u32_e64 v12, s[0:1], 0, v9, s[0:1]
	v_add_co_u32_e64 v13, s[0:1], 1, v8
	v_addc_co_u32_e64 v14, s[0:1], 0, v9, s[0:1]
	v_subb_co_u32_e32 v3, vcc, v7, v3, vcc
	v_cmp_ne_u32_e64 s[0:1], 0, v10
	v_cmp_le_u32_e32 vcc, s25, v3
	v_cndmask_b32_e64 v10, v14, v12, s[0:1]
	v_cndmask_b32_e64 v12, 0, -1, vcc
	v_cmp_le_u32_e32 vcc, s24, v2
	v_cndmask_b32_e64 v2, 0, -1, vcc
	v_cmp_eq_u32_e32 vcc, s25, v3
	v_cndmask_b32_e32 v2, v12, v2, vcc
	v_cmp_ne_u32_e32 vcc, 0, v2
	v_cndmask_b32_e64 v2, v13, v11, s[0:1]
	v_cndmask_b32_e32 v47, v9, v10, vcc
	v_cndmask_b32_e32 v46, v8, v2, vcc
.LBB0_4:                                ;   in Loop: Header=BB0_2 Depth=1
	s_andn2_saveexec_b64 s[0:1], s[26:27]
	s_cbranch_execz .LBB0_6
; %bb.5:                                ;   in Loop: Header=BB0_2 Depth=1
	v_cvt_f32_u32_e32 v2, s24
	s_sub_i32 s26, 0, s24
	v_mov_b32_e32 v47, v1
	v_rcp_iflag_f32_e32 v2, v2
	v_mul_f32_e32 v2, 0x4f7ffffe, v2
	v_cvt_u32_f32_e32 v2, v2
	v_mul_lo_u32 v3, s26, v2
	v_mul_hi_u32 v3, v2, v3
	v_add_u32_e32 v2, v2, v3
	v_mul_hi_u32 v2, v6, v2
	v_mul_lo_u32 v3, v2, s24
	v_add_u32_e32 v8, 1, v2
	v_sub_u32_e32 v3, v6, v3
	v_subrev_u32_e32 v9, s24, v3
	v_cmp_le_u32_e32 vcc, s24, v3
	v_cndmask_b32_e32 v3, v3, v9, vcc
	v_cndmask_b32_e32 v2, v2, v8, vcc
	v_add_u32_e32 v8, 1, v2
	v_cmp_le_u32_e32 vcc, s24, v3
	v_cndmask_b32_e32 v46, v2, v8, vcc
.LBB0_6:                                ;   in Loop: Header=BB0_2 Depth=1
	s_or_b64 exec, exec, s[0:1]
	v_mul_lo_u32 v8, v47, s24
	v_mul_lo_u32 v9, v46, s25
	v_mad_u64_u32 v[2:3], s[0:1], v46, s24, 0
	s_load_dwordx2 s[0:1], s[6:7], 0x0
	s_load_dwordx2 s[24:25], s[2:3], 0x0
	v_add3_u32 v3, v3, v9, v8
	v_sub_co_u32_e32 v2, vcc, v6, v2
	v_subb_co_u32_e32 v3, vcc, v7, v3, vcc
	s_waitcnt lgkmcnt(0)
	v_mul_lo_u32 v6, s0, v3
	v_mul_lo_u32 v7, s1, v2
	v_mad_u64_u32 v[4:5], s[0:1], s0, v2, v[4:5]
	v_mul_lo_u32 v3, s24, v3
	v_mul_lo_u32 v8, s25, v2
	v_mad_u64_u32 v[44:45], s[0:1], s24, v2, v[44:45]
	s_add_u32 s22, s22, 1
	s_addc_u32 s23, s23, 0
	s_add_u32 s2, s2, 8
	v_add3_u32 v45, v8, v45, v3
	s_addc_u32 s3, s3, 0
	v_mov_b32_e32 v2, s14
	s_add_u32 s6, s6, 8
	v_mov_b32_e32 v3, s15
	s_addc_u32 s7, s7, 0
	v_cmp_ge_u64_e32 vcc, s[22:23], v[2:3]
	s_add_u32 s20, s20, 8
	v_add3_u32 v5, v7, v5, v6
	s_addc_u32 s21, s21, 0
	s_cbranch_vccnz .LBB0_9
; %bb.7:                                ;   in Loop: Header=BB0_2 Depth=1
	v_mov_b32_e32 v6, v46
	v_mov_b32_e32 v7, v47
	s_branch .LBB0_2
.LBB0_8:
	v_mov_b32_e32 v45, v5
	v_mov_b32_e32 v47, v7
	;; [unrolled: 1-line block ×4, first 2 shown]
.LBB0_9:
	s_mov_b32 s2, 0x295fad5
	s_load_dwordx2 s[0:1], s[4:5], 0x28
	v_mul_hi_u32 v1, v0, s2
	s_lshl_b64 s[14:15], s[14:15], 3
	s_add_u32 s4, s18, s14
	s_addc_u32 s5, s19, s15
	v_mul_u32_u24_e32 v1, 0x63, v1
	s_waitcnt lgkmcnt(0)
	v_cmp_gt_u64_e64 s[0:1], s[0:1], v[46:47]
	v_sub_u32_e32 v48, v0, v1
	v_cmp_gt_u32_e64 s[2:3], 54, v48
	s_and_b64 s[18:19], s[0:1], s[2:3]
                                        ; implicit-def: $vgpr6_vgpr7
                                        ; implicit-def: $vgpr18_vgpr19
                                        ; implicit-def: $vgpr22_vgpr23
                                        ; implicit-def: $vgpr30_vgpr31
                                        ; implicit-def: $vgpr34_vgpr35
                                        ; implicit-def: $vgpr38_vgpr39
                                        ; implicit-def: $vgpr42_vgpr43
                                        ; implicit-def: $vgpr26_vgpr27
                                        ; implicit-def: $vgpr14_vgpr15
                                        ; implicit-def: $vgpr10_vgpr11
                                        ; implicit-def: $vgpr2_vgpr3
	s_and_saveexec_b64 s[6:7], s[18:19]
	s_cbranch_execz .LBB0_11
; %bb.10:
	s_add_u32 s14, s16, s14
	s_addc_u32 s15, s17, s15
	s_load_dwordx2 s[14:15], s[14:15], 0x0
	v_mov_b32_e32 v6, s9
	v_mov_b32_e32 v49, 0
	s_waitcnt lgkmcnt(0)
	v_mul_lo_u32 v2, s15, v46
	v_mul_lo_u32 v3, s14, v47
	v_mad_u64_u32 v[0:1], s[14:15], s14, v46, 0
	v_add3_u32 v1, v1, v3, v2
	v_lshlrev_b64 v[0:1], 4, v[0:1]
	v_add_co_u32_e32 v2, vcc, s8, v0
	v_addc_co_u32_e32 v3, vcc, v6, v1, vcc
	v_lshlrev_b64 v[0:1], 4, v[4:5]
	s_movk_i32 s8, 0x1000
	v_add_co_u32_e32 v2, vcc, v2, v0
	v_addc_co_u32_e32 v3, vcc, v3, v1, vcc
	v_lshlrev_b64 v[0:1], 4, v[48:49]
	v_add_co_u32_e32 v49, vcc, v2, v0
	v_addc_co_u32_e32 v50, vcc, v3, v1, vcc
	v_add_co_u32_e32 v51, vcc, s8, v49
	v_addc_co_u32_e32 v52, vcc, 0, v50, vcc
	v_add_co_u32_e32 v53, vcc, 0x2000, v49
	global_load_dwordx4 v[0:3], v[49:50], off
	global_load_dwordx4 v[8:11], v[49:50], off offset:864
	global_load_dwordx4 v[12:15], v[49:50], off offset:1728
	;; [unrolled: 1-line block ×3, first 2 shown]
	v_addc_co_u32_e32 v54, vcc, 0, v50, vcc
	global_load_dwordx4 v[40:43], v[49:50], off offset:3456
	global_load_dwordx4 v[36:39], v[51:52], off offset:224
	;; [unrolled: 1-line block ×7, first 2 shown]
.LBB0_11:
	s_or_b64 exec, exec, s[6:7]
	s_and_saveexec_b64 s[6:7], s[2:3]
	s_cbranch_execz .LBB0_13
; %bb.12:
	s_waitcnt vmcnt(9)
	v_add_f64 v[57:58], v[10:11], v[2:3]
	v_add_f64 v[61:62], v[8:9], v[0:1]
	s_waitcnt vmcnt(2)
	v_add_f64 v[67:68], v[22:23], v[26:27]
	v_add_f64 v[69:70], v[24:25], -v[20:21]
	v_add_f64 v[77:78], v[20:21], v[24:25]
	v_add_f64 v[79:80], v[26:27], -v[22:23]
	;; [unrolled: 2-line block ×3, first 2 shown]
	v_add_f64 v[65:66], v[14:15], v[57:58]
	v_add_f64 v[61:62], v[12:13], v[61:62]
	s_waitcnt vmcnt(1)
	v_add_f64 v[73:74], v[18:19], v[14:15]
	v_add_f64 v[75:76], v[12:13], -v[16:17]
	v_add_f64 v[49:50], v[34:35], v[38:39]
	v_add_f64 v[63:64], v[40:41], -v[28:29]
	v_add_f64 v[53:54], v[38:39], -v[34:35]
	v_add_f64 v[57:58], v[28:29], v[40:41]
	v_add_f64 v[65:66], v[26:27], v[65:66]
	;; [unrolled: 1-line block ×3, first 2 shown]
	s_waitcnt vmcnt(0)
	v_add_f64 v[61:62], v[8:9], -v[4:5]
	v_add_f64 v[81:82], v[6:7], v[10:11]
	s_mov_b32 s16, 0xfd768dbf
	s_mov_b32 s17, 0xbfd207e7
	s_mov_b32 s2, 0xf8bb580b
	s_mov_b32 s8, 0x9bcd5057
	v_add_f64 v[26:27], v[42:43], v[65:66]
	v_add_f64 v[42:43], v[16:17], v[12:13]
	v_add_f64 v[65:66], v[14:15], -v[18:19]
	v_add_f64 v[12:13], v[40:41], v[24:25]
	v_add_f64 v[40:41], v[10:11], -v[6:7]
	s_mov_b32 s3, 0x3fe14ced
	s_mov_b32 s9, 0xbfeeb42a
	v_add_f64 v[55:56], v[36:37], -v[32:33]
	v_add_f64 v[14:15], v[38:39], v[26:27]
	v_add_f64 v[38:39], v[4:5], v[8:9]
	;; [unrolled: 1-line block ×4, first 2 shown]
	v_mul_f64 v[12:13], v[61:62], s[16:17]
	v_mul_f64 v[24:25], v[75:76], s[2:3]
	;; [unrolled: 1-line block ×3, first 2 shown]
	s_mov_b32 s20, 0xbb3a28a1
	v_add_f64 v[10:11], v[34:35], v[14:15]
	v_mul_f64 v[14:15], v[40:41], s[16:17]
	s_mov_b32 s14, 0x8764f0ba
	v_add_f64 v[8:9], v[32:33], v[8:9]
	s_mov_b32 s21, 0xbfe82f19
	s_mov_b32 s15, 0x3feaeb8c
	v_mul_f64 v[34:35], v[79:80], s[20:21]
	v_fma_f64 v[36:37], v[42:43], s[14:15], v[26:27]
	v_add_f64 v[10:11], v[30:31], v[10:11]
	v_fma_f64 v[30:31], v[81:82], s[8:9], -v[12:13]
	v_fma_f64 v[32:33], v[38:39], s[8:9], v[14:15]
	v_add_f64 v[8:9], v[28:29], v[8:9]
	v_mul_f64 v[28:29], v[69:70], s[20:21]
	s_mov_b32 s18, 0x7f775887
	s_mov_b32 s19, 0xbfe4f49e
	;; [unrolled: 1-line block ×3, first 2 shown]
	v_add_f64 v[10:11], v[22:23], v[10:11]
	v_fma_f64 v[22:23], v[73:74], s[14:15], -v[24:25]
	v_add_f64 v[30:31], v[2:3], v[30:31]
	v_add_f64 v[32:33], v[0:1], v[32:33]
	;; [unrolled: 1-line block ×3, first 2 shown]
	s_mov_b32 s26, 0x8eee2c13
	v_fma_f64 v[20:21], v[67:68], s[18:19], -v[28:29]
	v_fma_f64 v[83:84], v[77:78], s[18:19], v[34:35]
	v_add_f64 v[10:11], v[18:19], v[10:11]
	v_mul_f64 v[18:19], v[63:64], s[26:27]
	v_add_f64 v[22:23], v[22:23], v[30:31]
	v_mul_f64 v[30:31], v[71:72], s[26:27]
	v_add_f64 v[8:9], v[16:17], v[8:9]
	v_add_f64 v[16:17], v[36:37], v[32:33]
	v_fma_f64 v[14:15], v[38:39], s[8:9], -v[14:15]
	s_mov_b32 s22, 0xd9c712b6
	v_add_f64 v[6:7], v[6:7], v[10:11]
	v_fma_f64 v[10:11], v[81:82], s[8:9], v[12:13]
	s_mov_b32 s23, 0x3fda9628
	v_fma_f64 v[12:13], v[59:60], s[22:23], -v[18:19]
	v_add_f64 v[20:21], v[20:21], v[22:23]
	v_add_f64 v[4:5], v[4:5], v[8:9]
	;; [unrolled: 1-line block ×3, first 2 shown]
	v_fma_f64 v[16:17], v[57:58], s[22:23], v[30:31]
	v_fma_f64 v[22:23], v[73:74], s[14:15], v[24:25]
	v_add_f64 v[10:11], v[2:3], v[10:11]
	v_fma_f64 v[24:25], v[42:43], s[14:15], -v[26:27]
	v_add_f64 v[14:15], v[0:1], v[14:15]
	s_mov_b32 s28, 0x43842ef
	s_mov_b32 s29, 0xbfefac9e
	v_add_f64 v[12:13], v[12:13], v[20:21]
	v_mul_f64 v[20:21], v[55:56], s[28:29]
	v_add_f64 v[8:9], v[16:17], v[8:9]
	v_add_f64 v[10:11], v[22:23], v[10:11]
	v_fma_f64 v[16:17], v[67:68], s[18:19], v[28:29]
	v_add_f64 v[14:15], v[24:25], v[14:15]
	v_fma_f64 v[22:23], v[77:78], s[18:19], -v[34:35]
	v_mul_f64 v[26:27], v[61:62], s[20:21]
	s_mov_b32 s24, 0x640f44db
	s_mov_b32 s25, 0xbfc2375f
	;; [unrolled: 1-line block ×4, first 2 shown]
	v_fma_f64 v[24:25], v[49:50], s[24:25], -v[20:21]
	v_mul_f64 v[28:29], v[53:54], s[28:29]
	v_add_f64 v[16:17], v[16:17], v[10:11]
	v_fma_f64 v[18:19], v[59:60], s[22:23], v[18:19]
	v_add_f64 v[14:15], v[22:23], v[14:15]
	v_fma_f64 v[22:23], v[57:58], s[22:23], -v[30:31]
	v_fma_f64 v[30:31], v[81:82], s[18:19], -v[26:27]
	v_mul_f64 v[32:33], v[75:76], s[30:31]
	v_mul_f64 v[34:35], v[40:41], s[20:21]
	s_mov_b32 s37, 0xbfe14ced
	s_mov_b32 s36, s2
	v_add_f64 v[10:11], v[24:25], v[12:13]
	v_fma_f64 v[12:13], v[51:52], s[24:25], v[28:29]
	v_add_f64 v[16:17], v[18:19], v[16:17]
	v_add_f64 v[18:19], v[22:23], v[14:15]
	v_fma_f64 v[14:15], v[49:50], s[24:25], v[20:21]
	v_add_f64 v[20:21], v[2:3], v[30:31]
	v_fma_f64 v[22:23], v[73:74], s[24:25], -v[32:33]
	v_fma_f64 v[24:25], v[38:39], s[18:19], v[34:35]
	v_mul_f64 v[30:31], v[65:66], s[30:31]
	v_mul_f64 v[36:37], v[69:70], s[36:37]
	v_fma_f64 v[28:29], v[51:52], s[24:25], -v[28:29]
	v_add_f64 v[8:9], v[12:13], v[8:9]
	v_add_f64 v[14:15], v[14:15], v[16:17]
	v_mul_f64 v[83:84], v[79:80], s[36:37]
	v_add_f64 v[20:21], v[22:23], v[20:21]
	v_add_f64 v[16:17], v[0:1], v[24:25]
	v_fma_f64 v[24:25], v[42:43], s[24:25], v[30:31]
	v_fma_f64 v[22:23], v[67:68], s[14:15], -v[36:37]
	v_add_f64 v[12:13], v[28:29], v[18:19]
	v_fma_f64 v[18:19], v[81:82], s[18:19], v[26:27]
	v_mul_f64 v[26:27], v[63:64], s[16:17]
	v_fma_f64 v[28:29], v[38:39], s[18:19], -v[34:35]
	v_mul_f64 v[34:35], v[71:72], s[16:17]
	v_fma_f64 v[30:31], v[42:43], s[24:25], -v[30:31]
	v_add_f64 v[16:17], v[24:25], v[16:17]
	v_fma_f64 v[24:25], v[77:78], s[14:15], v[83:84]
	v_add_f64 v[20:21], v[22:23], v[20:21]
	v_fma_f64 v[22:23], v[73:74], s[24:25], v[32:33]
	v_add_f64 v[18:19], v[2:3], v[18:19]
	v_add_f64 v[28:29], v[0:1], v[28:29]
	v_fma_f64 v[32:33], v[59:60], s[8:9], -v[26:27]
	v_mul_f64 v[85:86], v[55:56], s[26:27]
	v_fma_f64 v[26:27], v[59:60], s[8:9], v[26:27]
	v_add_f64 v[16:17], v[24:25], v[16:17]
	v_fma_f64 v[24:25], v[57:58], s[8:9], v[34:35]
	s_mov_b32 s35, 0x3fd207e7
	v_add_f64 v[18:19], v[22:23], v[18:19]
	v_fma_f64 v[22:23], v[67:68], s[14:15], v[36:37]
	v_add_f64 v[28:29], v[30:31], v[28:29]
	v_fma_f64 v[30:31], v[77:78], s[14:15], -v[83:84]
	v_add_f64 v[20:21], v[32:33], v[20:21]
	v_fma_f64 v[32:33], v[49:50], s[22:23], -v[85:86]
	v_add_f64 v[16:17], v[24:25], v[16:17]
	v_mul_f64 v[24:25], v[61:62], s[28:29]
	s_mov_b32 s34, s16
	v_add_f64 v[22:23], v[22:23], v[18:19]
	v_mul_f64 v[87:88], v[53:54], s[26:27]
	v_add_f64 v[28:29], v[30:31], v[28:29]
	v_mul_f64 v[83:84], v[75:76], s[34:35]
	v_fma_f64 v[34:35], v[57:58], s[8:9], -v[34:35]
	v_mul_f64 v[89:90], v[40:41], s[28:29]
	v_fma_f64 v[30:31], v[81:82], s[24:25], -v[24:25]
	v_add_f64 v[18:19], v[32:33], v[20:21]
	v_add_f64 v[20:21], v[26:27], v[22:23]
	v_fma_f64 v[22:23], v[49:50], s[22:23], v[85:86]
	v_fma_f64 v[36:37], v[51:52], s[22:23], v[87:88]
	v_mul_f64 v[85:86], v[69:70], s[26:27]
	v_add_f64 v[28:29], v[34:35], v[28:29]
	v_fma_f64 v[32:33], v[38:39], s[24:25], v[89:90]
	v_add_f64 v[26:27], v[2:3], v[30:31]
	v_fma_f64 v[30:31], v[73:74], s[8:9], -v[83:84]
	v_mul_f64 v[34:35], v[65:66], s[34:35]
	v_add_f64 v[22:23], v[22:23], v[20:21]
	v_fma_f64 v[20:21], v[81:82], s[24:25], v[24:25]
	v_add_f64 v[16:17], v[36:37], v[16:17]
	v_fma_f64 v[36:37], v[51:52], s[22:23], -v[87:88]
	v_mul_f64 v[87:88], v[79:80], s[26:27]
	v_fma_f64 v[83:84], v[73:74], s[8:9], v[83:84]
	v_add_f64 v[24:25], v[30:31], v[26:27]
	v_fma_f64 v[26:27], v[38:39], s[24:25], -v[89:90]
	v_add_f64 v[30:31], v[0:1], v[32:33]
	v_fma_f64 v[32:33], v[42:43], s[8:9], v[34:35]
	v_fma_f64 v[89:90], v[67:68], s[22:23], -v[85:86]
	v_add_f64 v[20:21], v[2:3], v[20:21]
	v_fma_f64 v[34:35], v[42:43], s[8:9], -v[34:35]
	v_mul_f64 v[91:92], v[63:64], s[36:37]
	v_mul_f64 v[93:94], v[53:54], s[20:21]
	v_add_f64 v[26:27], v[0:1], v[26:27]
	s_mov_b32 s27, 0xbfed1bb4
	v_add_f64 v[30:31], v[32:33], v[30:31]
	v_fma_f64 v[32:33], v[77:78], s[22:23], v[87:88]
	v_add_f64 v[24:25], v[89:90], v[24:25]
	v_mul_f64 v[89:90], v[71:72], s[36:37]
	v_add_f64 v[20:21], v[83:84], v[20:21]
	v_fma_f64 v[83:84], v[67:68], s[22:23], v[85:86]
	v_add_f64 v[26:27], v[34:35], v[26:27]
	v_fma_f64 v[34:35], v[77:78], s[22:23], -v[87:88]
	v_fma_f64 v[85:86], v[59:60], s[14:15], -v[91:92]
	v_add_f64 v[30:31], v[32:33], v[30:31]
	v_mul_f64 v[32:33], v[55:56], s[20:21]
	v_fma_f64 v[87:88], v[57:58], s[14:15], v[89:90]
	v_fma_f64 v[91:92], v[59:60], s[14:15], v[91:92]
	v_add_f64 v[83:84], v[83:84], v[20:21]
	v_add_f64 v[20:21], v[36:37], v[28:29]
	;; [unrolled: 1-line block ×3, first 2 shown]
	v_fma_f64 v[34:35], v[57:58], s[14:15], -v[89:90]
	v_add_f64 v[24:25], v[85:86], v[24:25]
	v_fma_f64 v[85:86], v[49:50], s[18:19], -v[32:33]
	v_add_f64 v[28:29], v[87:88], v[30:31]
	v_fma_f64 v[30:31], v[51:52], s[18:19], v[93:94]
	v_add_f64 v[36:37], v[91:92], v[83:84]
	v_fma_f64 v[32:33], v[49:50], s[18:19], v[32:33]
	v_fma_f64 v[83:84], v[51:52], s[18:19], -v[93:94]
	v_add_f64 v[34:35], v[34:35], v[26:27]
	v_mul_f64 v[91:92], v[69:70], s[28:29]
	v_add_f64 v[26:27], v[85:86], v[24:25]
	v_mul_f64 v[85:86], v[61:62], s[36:37]
	v_mul_f64 v[61:62], v[61:62], s[26:27]
	v_add_f64 v[24:25], v[30:31], v[28:29]
	v_add_f64 v[30:31], v[32:33], v[36:37]
	v_mul_f64 v[32:33], v[40:41], s[26:27]
	v_add_f64 v[28:29], v[83:84], v[34:35]
	v_mul_f64 v[34:35], v[40:41], s[36:37]
	v_mul_f64 v[40:41], v[75:76], s[26:27]
	v_fma_f64 v[36:37], v[81:82], s[14:15], v[85:86]
	v_fma_f64 v[83:84], v[81:82], s[22:23], -v[61:62]
	v_fma_f64 v[61:62], v[81:82], s[22:23], v[61:62]
	v_fma_f64 v[81:82], v[81:82], s[14:15], -v[85:86]
	v_fma_f64 v[85:86], v[38:39], s[22:23], v[32:33]
	v_mul_f64 v[75:76], v[75:76], s[20:21]
	v_fma_f64 v[32:33], v[38:39], s[22:23], -v[32:33]
	v_fma_f64 v[87:88], v[38:39], s[14:15], v[34:35]
	v_fma_f64 v[34:35], v[38:39], s[14:15], -v[34:35]
	v_add_f64 v[38:39], v[2:3], v[83:84]
	v_add_f64 v[61:62], v[2:3], v[61:62]
	v_mul_f64 v[69:70], v[69:70], s[34:35]
	v_add_f64 v[83:84], v[0:1], v[85:86]
	v_mul_f64 v[85:86], v[65:66], s[26:27]
	v_fma_f64 v[97:98], v[73:74], s[18:19], -v[75:76]
	v_fma_f64 v[75:76], v[73:74], s[18:19], v[75:76]
	v_add_f64 v[34:35], v[0:1], v[34:35]
	v_mul_f64 v[65:66], v[65:66], s[20:21]
	v_mul_f64 v[93:94], v[63:64], s[20:21]
	;; [unrolled: 1-line block ×3, first 2 shown]
	v_add_f64 v[36:37], v[2:3], v[36:37]
	v_fma_f64 v[95:96], v[42:43], s[22:23], -v[85:86]
	v_add_f64 v[38:39], v[97:98], v[38:39]
	v_fma_f64 v[97:98], v[67:68], s[8:9], -v[69:70]
	v_add_f64 v[61:62], v[75:76], v[61:62]
	v_fma_f64 v[69:70], v[67:68], s[8:9], v[69:70]
	v_add_f64 v[2:3], v[2:3], v[81:82]
	v_mul_f64 v[81:82], v[79:80], s[28:29]
	v_mul_f64 v[79:80], v[79:80], s[34:35]
	v_add_f64 v[34:35], v[95:96], v[34:35]
	v_fma_f64 v[95:96], v[42:43], s[18:19], v[65:66]
	v_fma_f64 v[89:90], v[73:74], s[22:23], v[40:41]
	v_add_f64 v[32:33], v[0:1], v[32:33]
	v_fma_f64 v[65:66], v[42:43], s[18:19], -v[65:66]
	v_add_f64 v[38:39], v[97:98], v[38:39]
	v_fma_f64 v[97:98], v[59:60], s[24:25], -v[63:64]
	v_add_f64 v[61:62], v[69:70], v[61:62]
	v_fma_f64 v[63:64], v[59:60], s[24:25], v[63:64]
	v_fma_f64 v[40:41], v[73:74], s[22:23], -v[40:41]
	v_mul_f64 v[101:102], v[71:72], s[20:21]
	v_add_f64 v[83:84], v[95:96], v[83:84]
	v_fma_f64 v[95:96], v[77:78], s[8:9], v[79:80]
	v_mul_f64 v[71:72], v[71:72], s[30:31]
	v_add_f64 v[0:1], v[0:1], v[87:88]
	v_fma_f64 v[42:43], v[42:43], s[22:23], v[85:86]
	v_add_f64 v[36:37], v[89:90], v[36:37]
	v_fma_f64 v[89:90], v[67:68], s[24:25], v[91:92]
	v_fma_f64 v[99:100], v[77:78], s[24:25], -v[81:82]
	v_add_f64 v[32:33], v[65:66], v[32:33]
	v_fma_f64 v[65:66], v[77:78], s[8:9], -v[79:80]
	v_add_f64 v[61:62], v[63:64], v[61:62]
	;; [unrolled: 2-line block ×3, first 2 shown]
	v_add_f64 v[83:84], v[95:96], v[83:84]
	v_fma_f64 v[95:96], v[57:58], s[24:25], v[71:72]
	v_fma_f64 v[67:68], v[57:58], s[24:25], -v[71:72]
	v_fma_f64 v[71:72], v[77:78], s[24:25], v[81:82]
	v_add_f64 v[0:1], v[42:43], v[0:1]
	v_add_f64 v[36:37], v[89:90], v[36:37]
	v_fma_f64 v[89:90], v[59:60], s[18:19], v[93:94]
	v_add_f64 v[34:35], v[99:100], v[34:35]
	v_fma_f64 v[75:76], v[57:58], s[18:19], -v[101:102]
	v_add_f64 v[32:33], v[65:66], v[32:33]
	v_mul_f64 v[65:66], v[55:56], s[16:17]
	v_mul_f64 v[40:41], v[53:54], s[16:17]
	;; [unrolled: 1-line block ×4, first 2 shown]
	v_fma_f64 v[59:60], v[59:60], s[18:19], -v[93:94]
	v_add_f64 v[2:3], v[63:64], v[2:3]
	v_fma_f64 v[57:58], v[57:58], s[18:19], v[101:102]
	v_add_f64 v[0:1], v[71:72], v[0:1]
	v_add_f64 v[36:37], v[89:90], v[36:37]
	;; [unrolled: 1-line block ×3, first 2 shown]
	v_fma_f64 v[55:56], v[49:50], s[8:9], v[65:66]
	v_fma_f64 v[63:64], v[51:52], s[8:9], -v[40:41]
	v_add_f64 v[38:39], v[97:98], v[38:39]
	v_add_f64 v[32:33], v[67:68], v[32:33]
	v_fma_f64 v[67:68], v[49:50], s[14:15], -v[42:43]
	v_fma_f64 v[42:43], v[49:50], s[14:15], v[42:43]
	v_fma_f64 v[49:50], v[49:50], s[8:9], -v[65:66]
	v_fma_f64 v[65:66], v[51:52], s[14:15], -v[53:54]
	v_add_f64 v[59:60], v[59:60], v[2:3]
	v_add_f64 v[69:70], v[95:96], v[83:84]
	v_fma_f64 v[53:54], v[51:52], s[14:15], v[53:54]
	v_fma_f64 v[40:41], v[51:52], s[8:9], v[40:41]
	v_add_f64 v[51:52], v[57:58], v[0:1]
	v_add_f64 v[2:3], v[55:56], v[36:37]
	;; [unrolled: 1-line block ×6, first 2 shown]
	s_movk_i32 s2, 0xb0
	v_add_f64 v[42:43], v[49:50], v[59:60]
	v_mad_u32_u24 v49, v48, s2, 0
	v_add_f64 v[32:33], v[53:54], v[69:70]
	v_add_f64 v[40:41], v[40:41], v[51:52]
	ds_write_b128 v49, v[4:7]
	ds_write_b128 v49, v[0:3] offset:16
	ds_write_b128 v49, v[36:39] offset:32
	;; [unrolled: 1-line block ×10, first 2 shown]
.LBB0_13:
	s_or_b64 exec, exec, s[6:7]
	s_movk_i32 s2, 0x75
	s_waitcnt vmcnt(10)
	v_mul_lo_u16_sdwa v1, v48, s2 dst_sel:DWORD dst_unused:UNUSED_PAD src0_sel:BYTE_0 src1_sel:DWORD
	v_sub_u16_sdwa v2, v48, v1 dst_sel:DWORD dst_unused:UNUSED_PAD src0_sel:DWORD src1_sel:BYTE_1
	v_lshrrev_b16_e32 v2, 1, v2
	v_and_b32_e32 v2, 0x7f, v2
	v_add_u16_sdwa v1, v2, v1 dst_sel:DWORD dst_unused:UNUSED_PAD src0_sel:DWORD src1_sel:BYTE_1
	s_waitcnt vmcnt(6)
	v_lshrrev_b16_e32 v42, 3, v1
	v_mul_lo_u16_e32 v1, 11, v42
	v_sub_u16_e32 v43, v48, v1
	v_mov_b32_e32 v49, 5
	v_add_u32_e32 v0, 0x63, v48
	v_lshlrev_b32_sdwa v1, v49, v43 dst_sel:DWORD dst_unused:UNUSED_PAD src0_sel:DWORD src1_sel:BYTE_0
	s_load_dwordx2 s[6:7], s[4:5], 0x0
	s_waitcnt vmcnt(0) lgkmcnt(0)
	s_barrier
	global_load_dwordx4 v[2:5], v1, s[12:13] offset:16
	global_load_dwordx4 v[6:9], v1, s[12:13]
	v_mul_lo_u16_sdwa v1, v0, s2 dst_sel:DWORD dst_unused:UNUSED_PAD src0_sel:BYTE_0 src1_sel:DWORD
	v_sub_u16_sdwa v10, v0, v1 dst_sel:DWORD dst_unused:UNUSED_PAD src0_sel:DWORD src1_sel:BYTE_1
	v_lshrrev_b16_e32 v10, 1, v10
	v_and_b32_e32 v10, 0x7f, v10
	v_add_u16_sdwa v1, v10, v1 dst_sel:DWORD dst_unused:UNUSED_PAD src0_sel:DWORD src1_sel:BYTE_1
	v_lshrrev_b16_e32 v50, 3, v1
	v_mul_lo_u16_e32 v1, 11, v50
	v_sub_u16_e32 v51, v0, v1
	v_lshlrev_b32_sdwa v1, v49, v51 dst_sel:DWORD dst_unused:UNUSED_PAD src0_sel:DWORD src1_sel:BYTE_0
	global_load_dwordx4 v[10:13], v1, s[12:13]
	global_load_dwordx4 v[14:17], v1, s[12:13] offset:16
	s_movk_i32 s8, 0xf9
	v_lshl_add_u32 v1, v48, 4, 0
	v_mul_lo_u16_sdwa v52, v48, s8 dst_sel:DWORD dst_unused:UNUSED_PAD src0_sel:BYTE_0 src1_sel:DWORD
	ds_read_b128 v[18:21], v1
	ds_read_b128 v[22:25], v1 offset:1584
	ds_read_b128 v[26:29], v1 offset:3168
	;; [unrolled: 1-line block ×5, first 2 shown]
	v_lshrrev_b16_e32 v56, 13, v52
	v_mul_lo_u16_e32 v52, 33, v56
	v_sub_u16_e32 v57, v48, v52
	v_mov_b32_e32 v55, 4
	v_mul_u32_u24_sdwa v49, v57, v49 dst_sel:DWORD dst_unused:UNUSED_PAD src0_sel:BYTE_0 src1_sel:DWORD
	v_lshlrev_b32_e32 v58, 4, v49
	v_mul_u32_u24_e32 v59, 0x210, v42
	v_mul_u32_u24_e32 v60, 0x210, v50
	v_lshlrev_b32_sdwa v61, v55, v43 dst_sel:DWORD dst_unused:UNUSED_PAD src0_sel:DWORD src1_sel:BYTE_0
	v_lshlrev_b32_sdwa v62, v55, v51 dst_sel:DWORD dst_unused:UNUSED_PAD src0_sel:DWORD src1_sel:BYTE_0
	s_mov_b32 s2, 0xe8584caa
	s_mov_b32 s3, 0x3febb67a
	;; [unrolled: 1-line block ×4, first 2 shown]
	s_waitcnt vmcnt(0) lgkmcnt(0)
	s_barrier
	v_mul_f64 v[49:50], v[36:37], v[4:5]
	v_mul_f64 v[42:43], v[28:29], v[8:9]
	;; [unrolled: 1-line block ×4, first 2 shown]
	v_fma_f64 v[26:27], v[26:27], v[6:7], -v[42:43]
	v_mul_f64 v[51:52], v[32:33], v[12:13]
	v_mul_f64 v[12:13], v[30:31], v[12:13]
	;; [unrolled: 1-line block ×4, first 2 shown]
	v_fma_f64 v[6:7], v[28:29], v[6:7], v[8:9]
	v_fma_f64 v[8:9], v[34:35], v[2:3], -v[49:50]
	v_fma_f64 v[4:5], v[36:37], v[2:3], v[4:5]
	v_fma_f64 v[2:3], v[30:31], v[10:11], -v[51:52]
	;; [unrolled: 2-line block ×3, first 2 shown]
	v_fma_f64 v[14:15], v[40:41], v[14:15], v[16:17]
	v_add_f64 v[16:17], v[18:19], v[26:27]
	v_add_f64 v[28:29], v[26:27], v[8:9]
	v_add_f64 v[30:31], v[6:7], -v[4:5]
	v_add_f64 v[32:33], v[20:21], v[6:7]
	v_add_f64 v[6:7], v[6:7], v[4:5]
	;; [unrolled: 1-line block ×4, first 2 shown]
	v_add_f64 v[38:39], v[10:11], -v[14:15]
	v_add_f64 v[10:11], v[10:11], v[14:15]
	v_add_f64 v[26:27], v[26:27], -v[8:9]
	v_add_f64 v[34:35], v[22:23], v[2:3]
	v_add_f64 v[42:43], v[2:3], -v[12:13]
	v_fma_f64 v[18:19], v[28:29], -0.5, v[18:19]
	v_add_f64 v[2:3], v[16:17], v[8:9]
	v_fma_f64 v[16:17], v[6:7], -0.5, v[20:21]
	v_fma_f64 v[20:21], v[36:37], -0.5, v[22:23]
	;; [unrolled: 1-line block ×3, first 2 shown]
	v_add_f64 v[4:5], v[32:33], v[4:5]
	v_add_f64 v[6:7], v[34:35], v[12:13]
	;; [unrolled: 1-line block ×3, first 2 shown]
	v_fma_f64 v[10:11], v[30:31], s[2:3], v[18:19]
	v_fma_f64 v[14:15], v[30:31], s[4:5], v[18:19]
	;; [unrolled: 1-line block ×8, first 2 shown]
	v_add3_u32 v26, 0, v59, v61
	v_add3_u32 v27, 0, v60, v62
	ds_write_b128 v26, v[2:5]
	ds_write_b128 v26, v[10:13] offset:176
	ds_write_b128 v26, v[14:17] offset:352
	ds_write_b128 v27, v[6:9]
	ds_write_b128 v27, v[18:21] offset:176
	ds_write_b128 v27, v[22:25] offset:352
	s_waitcnt lgkmcnt(0)
	s_barrier
	global_load_dwordx4 v[2:5], v58, s[12:13] offset:352
	global_load_dwordx4 v[6:9], v58, s[12:13] offset:368
	;; [unrolled: 1-line block ×5, first 2 shown]
	v_mul_u32_u24_e32 v22, 0xc60, v56
	v_lshlrev_b32_sdwa v23, v55, v57 dst_sel:DWORD dst_unused:UNUSED_PAD src0_sel:DWORD src1_sel:BYTE_0
	v_add3_u32 v61, 0, v22, v23
	ds_read_b128 v[22:25], v1
	ds_read_b128 v[26:29], v1 offset:1584
	ds_read_b128 v[30:33], v1 offset:3168
	;; [unrolled: 1-line block ×5, first 2 shown]
	s_waitcnt vmcnt(0) lgkmcnt(0)
	s_barrier
	v_mul_f64 v[42:43], v[28:29], v[4:5]
	v_mul_f64 v[4:5], v[26:27], v[4:5]
	;; [unrolled: 1-line block ×10, first 2 shown]
	v_fma_f64 v[34:35], v[34:35], v[10:11], -v[55:56]
	v_fma_f64 v[10:11], v[36:37], v[10:11], v[12:13]
	v_fma_f64 v[12:13], v[51:52], v[14:15], v[57:58]
	v_fma_f64 v[14:15], v[49:50], v[14:15], -v[16:17]
	v_fma_f64 v[30:31], v[30:31], v[6:7], -v[53:54]
	v_fma_f64 v[6:7], v[32:33], v[6:7], v[8:9]
	v_fma_f64 v[8:9], v[38:39], v[18:19], -v[59:60]
	v_fma_f64 v[16:17], v[40:41], v[18:19], v[20:21]
	;; [unrolled: 2-line block ×3, first 2 shown]
	v_add_f64 v[4:5], v[10:11], v[12:13]
	v_add_f64 v[20:21], v[34:35], v[14:15]
	;; [unrolled: 1-line block ×3, first 2 shown]
	v_add_f64 v[38:39], v[10:11], -v[12:13]
	v_add_f64 v[28:29], v[30:31], v[8:9]
	v_add_f64 v[40:41], v[34:35], -v[14:15]
	v_add_f64 v[32:33], v[6:7], -v[16:17]
	v_add_f64 v[36:37], v[24:25], v[6:7]
	v_fma_f64 v[4:5], v[4:5], -0.5, v[2:3]
	v_fma_f64 v[20:21], v[20:21], -0.5, v[18:19]
	v_add_f64 v[6:7], v[6:7], v[16:17]
	v_add_f64 v[30:31], v[30:31], -v[8:9]
	v_add_f64 v[2:3], v[2:3], v[10:11]
	v_add_f64 v[8:9], v[26:27], v[8:9]
	v_fma_f64 v[10:11], v[28:29], -0.5, v[22:23]
	v_add_f64 v[18:19], v[18:19], v[34:35]
	v_fma_f64 v[22:23], v[40:41], s[4:5], v[4:5]
	v_fma_f64 v[26:27], v[38:39], s[4:5], v[20:21]
	;; [unrolled: 1-line block ×4, first 2 shown]
	v_fma_f64 v[6:7], v[6:7], -0.5, v[24:25]
	v_add_f64 v[12:13], v[2:3], v[12:13]
	v_add_f64 v[16:17], v[36:37], v[16:17]
	;; [unrolled: 1-line block ×3, first 2 shown]
	v_mul_f64 v[2:3], v[22:23], s[2:3]
	v_mul_f64 v[18:19], v[26:27], -0.5
	v_mul_f64 v[24:25], v[20:21], s[4:5]
	v_mul_f64 v[28:29], v[4:5], -0.5
	v_fma_f64 v[34:35], v[32:33], s[2:3], v[10:11]
	v_fma_f64 v[36:37], v[30:31], s[4:5], v[6:7]
	;; [unrolled: 1-line block ×4, first 2 shown]
	v_fma_f64 v[20:21], v[20:21], 0.5, v[2:3]
	v_fma_f64 v[38:39], v[4:5], s[2:3], v[18:19]
	v_fma_f64 v[24:25], v[22:23], 0.5, v[24:25]
	v_fma_f64 v[26:27], v[26:27], s[4:5], v[28:29]
	v_add_f64 v[2:3], v[8:9], v[14:15]
	v_add_f64 v[4:5], v[16:17], v[12:13]
	v_add_f64 v[6:7], v[8:9], -v[14:15]
	v_add_f64 v[8:9], v[16:17], -v[12:13]
	v_add_f64 v[10:11], v[34:35], v[20:21]
	v_add_f64 v[14:15], v[32:33], v[38:39]
	;; [unrolled: 1-line block ×4, first 2 shown]
	v_add_f64 v[18:19], v[34:35], -v[20:21]
	v_add_f64 v[20:21], v[36:37], -v[24:25]
	;; [unrolled: 1-line block ×4, first 2 shown]
	ds_write_b128 v61, v[2:5]
	ds_write_b128 v61, v[6:9] offset:1584
	ds_write_b128 v61, v[10:13] offset:528
	;; [unrolled: 1-line block ×5, first 2 shown]
	s_waitcnt lgkmcnt(0)
	s_barrier
	s_and_saveexec_b64 s[8:9], s[0:1]
	s_cbranch_execz .LBB0_15
; %bb.14:
	v_lshlrev_b32_e32 v42, 1, v0
	v_mov_b32_e32 v43, 0
	v_lshlrev_b64 v[2:3], 4, v[42:43]
	v_mov_b32_e32 v12, s13
	v_add_co_u32_e32 v10, vcc, s12, v2
	v_addc_co_u32_e32 v11, vcc, v12, v3, vcc
	v_lshlrev_b32_e32 v42, 1, v48
	global_load_dwordx4 v[2:5], v[10:11], off offset:3008
	global_load_dwordx4 v[6:9], v[10:11], off offset:2992
	v_lshlrev_b64 v[10:11], 4, v[42:43]
	v_mul_lo_u32 v42, s7, v46
	v_add_co_u32_e32 v18, vcc, s12, v10
	v_addc_co_u32_e32 v19, vcc, v12, v11, vcc
	global_load_dwordx4 v[10:13], v[18:19], off offset:2992
	global_load_dwordx4 v[14:17], v[18:19], off offset:3008
	v_mul_lo_u32 v50, s6, v47
	v_mad_u64_u32 v[46:47], s[0:1], s6, v46, 0
	v_mov_b32_e32 v51, s11
	v_lshlrev_b64 v[44:45], 4, v[44:45]
	v_add3_u32 v47, v47, v50, v42
	v_lshlrev_b64 v[46:47], 4, v[46:47]
	s_mov_b32 s1, 0xa57eb503
	v_add_co_u32_e32 v46, vcc, s10, v46
	v_mov_b32_e32 v49, v43
	v_mul_hi_u32 v52, v0, s1
	v_addc_co_u32_e32 v47, vcc, v51, v47, vcc
	ds_read_b128 v[18:21], v1 offset:4752
	ds_read_b128 v[22:25], v1 offset:3168
	;; [unrolled: 1-line block ×5, first 2 shown]
	ds_read_b128 v[38:41], v1
	v_lshlrev_b64 v[0:1], 4, v[48:49]
	v_add_co_u32_e32 v44, vcc, v46, v44
	v_addc_co_u32_e32 v45, vcc, v47, v45, vcc
	v_add_co_u32_e32 v44, vcc, v44, v0
	v_lshrrev_b32_e32 v42, 7, v52
	v_addc_co_u32_e32 v45, vcc, v45, v1, vcc
	v_mul_u32_u24_e32 v42, 0x18c, v42
	s_movk_i32 s0, 0x1000
	v_lshlrev_b64 v[42:43], 4, v[42:43]
	v_add_co_u32_e32 v46, vcc, s0, v44
	v_add_co_u32_e64 v42, s[0:1], v44, v42
	v_addc_co_u32_e32 v47, vcc, 0, v45, vcc
	v_addc_co_u32_e64 v43, s[0:1], v45, v43, s[0:1]
	v_add_co_u32_e32 v48, vcc, 0x630, v42
	v_addc_co_u32_e32 v49, vcc, 0, v43, vcc
	s_waitcnt vmcnt(3) lgkmcnt(3)
	v_mul_f64 v[50:51], v[4:5], v[28:29]
	s_waitcnt vmcnt(2)
	v_mul_f64 v[0:1], v[8:9], v[20:21]
	v_mul_f64 v[20:21], v[6:7], v[20:21]
	;; [unrolled: 1-line block ×3, first 2 shown]
	s_waitcnt vmcnt(1)
	v_mul_f64 v[52:53], v[12:13], v[24:25]
	s_waitcnt vmcnt(0) lgkmcnt(2)
	v_mul_f64 v[54:55], v[16:17], v[32:33]
	v_mul_f64 v[24:25], v[10:11], v[24:25]
	;; [unrolled: 1-line block ×3, first 2 shown]
	v_fma_f64 v[0:1], v[6:7], v[18:19], -v[0:1]
	v_fma_f64 v[6:7], v[2:3], v[26:27], -v[50:51]
	v_fma_f64 v[2:3], v[18:19], v[8:9], v[20:21]
	v_fma_f64 v[4:5], v[26:27], v[4:5], v[28:29]
	v_fma_f64 v[8:9], v[10:11], v[22:23], -v[52:53]
	v_fma_f64 v[14:15], v[14:15], v[30:31], -v[54:55]
	v_fma_f64 v[10:11], v[22:23], v[12:13], v[24:25]
	v_fma_f64 v[12:13], v[30:31], v[16:17], v[32:33]
	v_add_co_u32_e32 v26, vcc, 0x1000, v42
	s_waitcnt lgkmcnt(1)
	v_add_f64 v[20:21], v[2:3], v[36:37]
	v_add_f64 v[18:19], v[2:3], v[4:5]
	v_add_f64 v[22:23], v[0:1], v[6:7]
	v_add_f64 v[31:32], v[8:9], v[14:15]
	v_add_f64 v[16:17], v[0:1], -v[6:7]
	v_add_f64 v[27:28], v[10:11], v[12:13]
	v_add_f64 v[0:1], v[0:1], v[34:35]
	v_add_f64 v[29:30], v[8:9], -v[14:15]
	s_waitcnt lgkmcnt(0)
	v_add_f64 v[50:51], v[10:11], v[40:41]
	v_add_f64 v[8:9], v[8:9], v[38:39]
	v_add_f64 v[24:25], v[2:3], -v[4:5]
	v_add_f64 v[52:53], v[10:11], -v[12:13]
	v_fma_f64 v[18:19], v[18:19], -0.5, v[36:37]
	v_add_f64 v[2:3], v[4:5], v[20:21]
	v_fma_f64 v[20:21], v[27:28], -0.5, v[40:41]
	v_fma_f64 v[31:32], v[31:32], -0.5, v[38:39]
	;; [unrolled: 1-line block ×3, first 2 shown]
	v_add_f64 v[0:1], v[6:7], v[0:1]
	v_add_f64 v[6:7], v[12:13], v[50:51]
	;; [unrolled: 1-line block ×3, first 2 shown]
	v_fma_f64 v[10:11], v[16:17], s[2:3], v[18:19]
	v_fma_f64 v[14:15], v[16:17], s[4:5], v[18:19]
	v_fma_f64 v[18:19], v[29:30], s[2:3], v[20:21]
	v_fma_f64 v[22:23], v[29:30], s[4:5], v[20:21]
	v_fma_f64 v[20:21], v[52:53], s[2:3], v[31:32]
	v_fma_f64 v[16:17], v[52:53], s[4:5], v[31:32]
	v_fma_f64 v[12:13], v[24:25], s[2:3], v[27:28]
	v_fma_f64 v[8:9], v[24:25], s[4:5], v[27:28]
	v_addc_co_u32_e32 v27, vcc, 0, v43, vcc
	global_store_dwordx4 v[44:45], v[4:7], off
	global_store_dwordx4 v[44:45], v[20:23], off offset:3168
	global_store_dwordx4 v[46:47], v[16:19], off offset:2240
	;; [unrolled: 1-line block ×5, first 2 shown]
.LBB0_15:
	s_endpgm
	.section	.rodata,"a",@progbits
	.p2align	6, 0x0
	.amdhsa_kernel fft_rtc_fwd_len594_factors_11_3_6_3_wgs_99_tpt_99_dp_op_CI_CI_unitstride_sbrr_dirReg
		.amdhsa_group_segment_fixed_size 0
		.amdhsa_private_segment_fixed_size 0
		.amdhsa_kernarg_size 104
		.amdhsa_user_sgpr_count 6
		.amdhsa_user_sgpr_private_segment_buffer 1
		.amdhsa_user_sgpr_dispatch_ptr 0
		.amdhsa_user_sgpr_queue_ptr 0
		.amdhsa_user_sgpr_kernarg_segment_ptr 1
		.amdhsa_user_sgpr_dispatch_id 0
		.amdhsa_user_sgpr_flat_scratch_init 0
		.amdhsa_user_sgpr_private_segment_size 0
		.amdhsa_uses_dynamic_stack 0
		.amdhsa_system_sgpr_private_segment_wavefront_offset 0
		.amdhsa_system_sgpr_workgroup_id_x 1
		.amdhsa_system_sgpr_workgroup_id_y 0
		.amdhsa_system_sgpr_workgroup_id_z 0
		.amdhsa_system_sgpr_workgroup_info 0
		.amdhsa_system_vgpr_workitem_id 0
		.amdhsa_next_free_vgpr 103
		.amdhsa_next_free_sgpr 38
		.amdhsa_reserve_vcc 1
		.amdhsa_reserve_flat_scratch 0
		.amdhsa_float_round_mode_32 0
		.amdhsa_float_round_mode_16_64 0
		.amdhsa_float_denorm_mode_32 3
		.amdhsa_float_denorm_mode_16_64 3
		.amdhsa_dx10_clamp 1
		.amdhsa_ieee_mode 1
		.amdhsa_fp16_overflow 0
		.amdhsa_exception_fp_ieee_invalid_op 0
		.amdhsa_exception_fp_denorm_src 0
		.amdhsa_exception_fp_ieee_div_zero 0
		.amdhsa_exception_fp_ieee_overflow 0
		.amdhsa_exception_fp_ieee_underflow 0
		.amdhsa_exception_fp_ieee_inexact 0
		.amdhsa_exception_int_div_zero 0
	.end_amdhsa_kernel
	.text
.Lfunc_end0:
	.size	fft_rtc_fwd_len594_factors_11_3_6_3_wgs_99_tpt_99_dp_op_CI_CI_unitstride_sbrr_dirReg, .Lfunc_end0-fft_rtc_fwd_len594_factors_11_3_6_3_wgs_99_tpt_99_dp_op_CI_CI_unitstride_sbrr_dirReg
                                        ; -- End function
	.section	.AMDGPU.csdata,"",@progbits
; Kernel info:
; codeLenInByte = 6272
; NumSgprs: 42
; NumVgprs: 103
; ScratchSize: 0
; MemoryBound: 1
; FloatMode: 240
; IeeeMode: 1
; LDSByteSize: 0 bytes/workgroup (compile time only)
; SGPRBlocks: 5
; VGPRBlocks: 25
; NumSGPRsForWavesPerEU: 42
; NumVGPRsForWavesPerEU: 103
; Occupancy: 2
; WaveLimiterHint : 1
; COMPUTE_PGM_RSRC2:SCRATCH_EN: 0
; COMPUTE_PGM_RSRC2:USER_SGPR: 6
; COMPUTE_PGM_RSRC2:TRAP_HANDLER: 0
; COMPUTE_PGM_RSRC2:TGID_X_EN: 1
; COMPUTE_PGM_RSRC2:TGID_Y_EN: 0
; COMPUTE_PGM_RSRC2:TGID_Z_EN: 0
; COMPUTE_PGM_RSRC2:TIDIG_COMP_CNT: 0
	.type	__hip_cuid_276c8af290575e28,@object ; @__hip_cuid_276c8af290575e28
	.section	.bss,"aw",@nobits
	.globl	__hip_cuid_276c8af290575e28
__hip_cuid_276c8af290575e28:
	.byte	0                               ; 0x0
	.size	__hip_cuid_276c8af290575e28, 1

	.ident	"AMD clang version 19.0.0git (https://github.com/RadeonOpenCompute/llvm-project roc-6.4.0 25133 c7fe45cf4b819c5991fe208aaa96edf142730f1d)"
	.section	".note.GNU-stack","",@progbits
	.addrsig
	.addrsig_sym __hip_cuid_276c8af290575e28
	.amdgpu_metadata
---
amdhsa.kernels:
  - .args:
      - .actual_access:  read_only
        .address_space:  global
        .offset:         0
        .size:           8
        .value_kind:     global_buffer
      - .offset:         8
        .size:           8
        .value_kind:     by_value
      - .actual_access:  read_only
        .address_space:  global
        .offset:         16
        .size:           8
        .value_kind:     global_buffer
      - .actual_access:  read_only
        .address_space:  global
        .offset:         24
        .size:           8
        .value_kind:     global_buffer
      - .actual_access:  read_only
        .address_space:  global
        .offset:         32
        .size:           8
        .value_kind:     global_buffer
      - .offset:         40
        .size:           8
        .value_kind:     by_value
      - .actual_access:  read_only
        .address_space:  global
        .offset:         48
        .size:           8
        .value_kind:     global_buffer
      - .actual_access:  read_only
        .address_space:  global
        .offset:         56
        .size:           8
        .value_kind:     global_buffer
      - .offset:         64
        .size:           4
        .value_kind:     by_value
      - .actual_access:  read_only
        .address_space:  global
        .offset:         72
        .size:           8
        .value_kind:     global_buffer
      - .actual_access:  read_only
        .address_space:  global
        .offset:         80
        .size:           8
        .value_kind:     global_buffer
      - .actual_access:  read_only
        .address_space:  global
        .offset:         88
        .size:           8
        .value_kind:     global_buffer
      - .actual_access:  write_only
        .address_space:  global
        .offset:         96
        .size:           8
        .value_kind:     global_buffer
    .group_segment_fixed_size: 0
    .kernarg_segment_align: 8
    .kernarg_segment_size: 104
    .language:       OpenCL C
    .language_version:
      - 2
      - 0
    .max_flat_workgroup_size: 99
    .name:           fft_rtc_fwd_len594_factors_11_3_6_3_wgs_99_tpt_99_dp_op_CI_CI_unitstride_sbrr_dirReg
    .private_segment_fixed_size: 0
    .sgpr_count:     42
    .sgpr_spill_count: 0
    .symbol:         fft_rtc_fwd_len594_factors_11_3_6_3_wgs_99_tpt_99_dp_op_CI_CI_unitstride_sbrr_dirReg.kd
    .uniform_work_group_size: 1
    .uses_dynamic_stack: false
    .vgpr_count:     103
    .vgpr_spill_count: 0
    .wavefront_size: 64
amdhsa.target:   amdgcn-amd-amdhsa--gfx906
amdhsa.version:
  - 1
  - 2
...

	.end_amdgpu_metadata
